;; amdgpu-corpus repo=ROCm/rocFFT kind=compiled arch=gfx950 opt=O3
	.text
	.amdgcn_target "amdgcn-amd-amdhsa--gfx950"
	.amdhsa_code_object_version 6
	.protected	fft_rtc_back_len486_factors_6_3_3_3_3_wgs_162_tpt_162_halfLds_dp_ip_CI_unitstride_sbrr_dirReg ; -- Begin function fft_rtc_back_len486_factors_6_3_3_3_3_wgs_162_tpt_162_halfLds_dp_ip_CI_unitstride_sbrr_dirReg
	.globl	fft_rtc_back_len486_factors_6_3_3_3_3_wgs_162_tpt_162_halfLds_dp_ip_CI_unitstride_sbrr_dirReg
	.p2align	8
	.type	fft_rtc_back_len486_factors_6_3_3_3_3_wgs_162_tpt_162_halfLds_dp_ip_CI_unitstride_sbrr_dirReg,@function
fft_rtc_back_len486_factors_6_3_3_3_3_wgs_162_tpt_162_halfLds_dp_ip_CI_unitstride_sbrr_dirReg: ; @fft_rtc_back_len486_factors_6_3_3_3_3_wgs_162_tpt_162_halfLds_dp_ip_CI_unitstride_sbrr_dirReg
; %bb.0:
	s_load_dwordx2 s[8:9], s[0:1], 0x50
	s_load_dwordx4 s[4:7], s[0:1], 0x0
	s_load_dwordx2 s[10:11], s[0:1], 0x18
	v_mul_u32_u24_e32 v1, 0x195, v0
	v_add_u32_sdwa v6, s2, v1 dst_sel:DWORD dst_unused:UNUSED_PAD src0_sel:DWORD src1_sel:WORD_1
	v_mov_b32_e32 v4, 0
	s_waitcnt lgkmcnt(0)
	v_cmp_lt_u64_e64 s[2:3], s[6:7], 2
	v_mov_b32_e32 v7, v4
	s_and_b64 vcc, exec, s[2:3]
	v_mov_b64_e32 v[2:3], 0
	s_cbranch_vccnz .LBB0_8
; %bb.1:
	s_load_dwordx2 s[2:3], s[0:1], 0x10
	s_add_u32 s12, s10, 8
	s_addc_u32 s13, s11, 0
	s_mov_b64 s[14:15], 1
	v_mov_b64_e32 v[2:3], 0
	s_waitcnt lgkmcnt(0)
	s_add_u32 s16, s2, 8
	s_addc_u32 s17, s3, 0
.LBB0_2:                                ; =>This Inner Loop Header: Depth=1
	s_load_dwordx2 s[18:19], s[16:17], 0x0
                                        ; implicit-def: $vgpr8_vgpr9
	s_waitcnt lgkmcnt(0)
	v_or_b32_e32 v5, s19, v7
	v_cmp_ne_u64_e32 vcc, 0, v[4:5]
	s_and_saveexec_b64 s[2:3], vcc
	s_xor_b64 s[20:21], exec, s[2:3]
	s_cbranch_execz .LBB0_4
; %bb.3:                                ;   in Loop: Header=BB0_2 Depth=1
	v_cvt_f32_u32_e32 v1, s18
	v_cvt_f32_u32_e32 v5, s19
	s_sub_u32 s2, 0, s18
	s_subb_u32 s3, 0, s19
	v_fmac_f32_e32 v1, 0x4f800000, v5
	v_rcp_f32_e32 v1, v1
	s_nop 0
	v_mul_f32_e32 v1, 0x5f7ffffc, v1
	v_mul_f32_e32 v5, 0x2f800000, v1
	v_trunc_f32_e32 v5, v5
	v_fmac_f32_e32 v1, 0xcf800000, v5
	v_cvt_u32_f32_e32 v5, v5
	v_cvt_u32_f32_e32 v1, v1
	v_mul_lo_u32 v8, s2, v5
	v_mul_hi_u32 v10, s2, v1
	v_mul_lo_u32 v9, s3, v1
	v_add_u32_e32 v10, v10, v8
	v_mul_lo_u32 v12, s2, v1
	v_add_u32_e32 v13, v10, v9
	v_mul_hi_u32 v8, v1, v12
	v_mul_hi_u32 v11, v1, v13
	v_mul_lo_u32 v10, v1, v13
	v_mov_b32_e32 v9, v4
	v_lshl_add_u64 v[8:9], v[8:9], 0, v[10:11]
	v_mul_hi_u32 v11, v5, v12
	v_mul_lo_u32 v12, v5, v12
	v_add_co_u32_e32 v8, vcc, v8, v12
	v_mul_hi_u32 v10, v5, v13
	s_nop 0
	v_addc_co_u32_e32 v8, vcc, v9, v11, vcc
	v_mov_b32_e32 v9, v4
	s_nop 0
	v_addc_co_u32_e32 v11, vcc, 0, v10, vcc
	v_mul_lo_u32 v10, v5, v13
	v_lshl_add_u64 v[8:9], v[8:9], 0, v[10:11]
	v_add_co_u32_e32 v1, vcc, v1, v8
	v_mul_lo_u32 v10, s2, v1
	s_nop 0
	v_addc_co_u32_e32 v5, vcc, v5, v9, vcc
	v_mul_lo_u32 v8, s2, v5
	v_mul_hi_u32 v9, s2, v1
	v_add_u32_e32 v8, v9, v8
	v_mul_lo_u32 v9, s3, v1
	v_add_u32_e32 v12, v8, v9
	v_mul_hi_u32 v14, v5, v10
	v_mul_lo_u32 v15, v5, v10
	v_mul_hi_u32 v9, v1, v12
	v_mul_lo_u32 v8, v1, v12
	v_mul_hi_u32 v10, v1, v10
	v_mov_b32_e32 v11, v4
	v_lshl_add_u64 v[8:9], v[10:11], 0, v[8:9]
	v_add_co_u32_e32 v8, vcc, v8, v15
	v_mul_hi_u32 v13, v5, v12
	s_nop 0
	v_addc_co_u32_e32 v8, vcc, v9, v14, vcc
	v_mul_lo_u32 v10, v5, v12
	s_nop 0
	v_addc_co_u32_e32 v11, vcc, 0, v13, vcc
	v_mov_b32_e32 v9, v4
	v_lshl_add_u64 v[8:9], v[8:9], 0, v[10:11]
	v_add_co_u32_e32 v1, vcc, v1, v8
	v_mul_hi_u32 v10, v6, v1
	s_nop 0
	v_addc_co_u32_e32 v5, vcc, v5, v9, vcc
	v_mad_u64_u32 v[8:9], s[2:3], v6, v5, 0
	v_mov_b32_e32 v11, v4
	v_lshl_add_u64 v[8:9], v[10:11], 0, v[8:9]
	v_mad_u64_u32 v[12:13], s[2:3], v7, v1, 0
	v_add_co_u32_e32 v1, vcc, v8, v12
	v_mad_u64_u32 v[10:11], s[2:3], v7, v5, 0
	s_nop 0
	v_addc_co_u32_e32 v8, vcc, v9, v13, vcc
	v_mov_b32_e32 v9, v4
	s_nop 0
	v_addc_co_u32_e32 v11, vcc, 0, v11, vcc
	v_lshl_add_u64 v[8:9], v[8:9], 0, v[10:11]
	v_mul_lo_u32 v1, s19, v8
	v_mul_lo_u32 v5, s18, v9
	v_mad_u64_u32 v[10:11], s[2:3], s18, v8, 0
	v_add3_u32 v1, v11, v5, v1
	v_sub_u32_e32 v5, v7, v1
	v_mov_b32_e32 v11, s19
	v_sub_co_u32_e32 v14, vcc, v6, v10
	v_lshl_add_u64 v[12:13], v[8:9], 0, 1
	s_nop 0
	v_subb_co_u32_e64 v5, s[2:3], v5, v11, vcc
	v_subrev_co_u32_e64 v10, s[2:3], s18, v14
	v_subb_co_u32_e32 v1, vcc, v7, v1, vcc
	s_nop 0
	v_subbrev_co_u32_e64 v5, s[2:3], 0, v5, s[2:3]
	v_cmp_le_u32_e64 s[2:3], s19, v5
	v_cmp_le_u32_e32 vcc, s19, v1
	s_nop 0
	v_cndmask_b32_e64 v11, 0, -1, s[2:3]
	v_cmp_le_u32_e64 s[2:3], s18, v10
	s_nop 1
	v_cndmask_b32_e64 v10, 0, -1, s[2:3]
	v_cmp_eq_u32_e64 s[2:3], s19, v5
	s_nop 1
	v_cndmask_b32_e64 v5, v11, v10, s[2:3]
	v_lshl_add_u64 v[10:11], v[8:9], 0, 2
	v_cmp_ne_u32_e64 s[2:3], 0, v5
	s_nop 1
	v_cndmask_b32_e64 v5, v13, v11, s[2:3]
	v_cndmask_b32_e64 v11, 0, -1, vcc
	v_cmp_le_u32_e32 vcc, s18, v14
	s_nop 1
	v_cndmask_b32_e64 v13, 0, -1, vcc
	v_cmp_eq_u32_e32 vcc, s19, v1
	s_nop 1
	v_cndmask_b32_e32 v1, v11, v13, vcc
	v_cmp_ne_u32_e32 vcc, 0, v1
	v_cndmask_b32_e64 v1, v12, v10, s[2:3]
	s_nop 0
	v_cndmask_b32_e32 v9, v9, v5, vcc
	v_cndmask_b32_e32 v8, v8, v1, vcc
.LBB0_4:                                ;   in Loop: Header=BB0_2 Depth=1
	s_andn2_saveexec_b64 s[2:3], s[20:21]
	s_cbranch_execz .LBB0_6
; %bb.5:                                ;   in Loop: Header=BB0_2 Depth=1
	v_cvt_f32_u32_e32 v1, s18
	s_sub_i32 s20, 0, s18
	v_rcp_iflag_f32_e32 v1, v1
	s_nop 0
	v_mul_f32_e32 v1, 0x4f7ffffe, v1
	v_cvt_u32_f32_e32 v1, v1
	v_mul_lo_u32 v5, s20, v1
	v_mul_hi_u32 v5, v1, v5
	v_add_u32_e32 v1, v1, v5
	v_mul_hi_u32 v1, v6, v1
	v_mul_lo_u32 v5, v1, s18
	v_sub_u32_e32 v5, v6, v5
	v_add_u32_e32 v8, 1, v1
	v_subrev_u32_e32 v9, s18, v5
	v_cmp_le_u32_e32 vcc, s18, v5
	s_nop 1
	v_cndmask_b32_e32 v5, v5, v9, vcc
	v_cndmask_b32_e32 v1, v1, v8, vcc
	v_add_u32_e32 v8, 1, v1
	v_cmp_le_u32_e32 vcc, s18, v5
	v_mov_b32_e32 v9, v4
	s_nop 0
	v_cndmask_b32_e32 v8, v1, v8, vcc
.LBB0_6:                                ;   in Loop: Header=BB0_2 Depth=1
	s_or_b64 exec, exec, s[2:3]
	v_mad_u64_u32 v[10:11], s[2:3], v8, s18, 0
	s_load_dwordx2 s[2:3], s[12:13], 0x0
	v_mul_lo_u32 v1, v9, s18
	v_mul_lo_u32 v5, v8, s19
	v_add3_u32 v1, v11, v5, v1
	v_sub_co_u32_e32 v5, vcc, v6, v10
	s_add_u32 s14, s14, 1
	s_nop 0
	v_subb_co_u32_e32 v1, vcc, v7, v1, vcc
	s_addc_u32 s15, s15, 0
	s_waitcnt lgkmcnt(0)
	v_mul_lo_u32 v1, s2, v1
	v_mul_lo_u32 v6, s3, v5
	v_mad_u64_u32 v[2:3], s[2:3], s2, v5, v[2:3]
	s_add_u32 s12, s12, 8
	v_add3_u32 v3, v6, v3, v1
	s_addc_u32 s13, s13, 0
	v_mov_b64_e32 v[6:7], s[6:7]
	s_add_u32 s16, s16, 8
	v_cmp_ge_u64_e32 vcc, s[14:15], v[6:7]
	s_addc_u32 s17, s17, 0
	s_cbranch_vccnz .LBB0_9
; %bb.7:                                ;   in Loop: Header=BB0_2 Depth=1
	v_mov_b64_e32 v[6:7], v[8:9]
	s_branch .LBB0_2
.LBB0_8:
	v_mov_b64_e32 v[8:9], v[6:7]
.LBB0_9:
	s_lshl_b64 s[2:3], s[6:7], 3
	s_add_u32 s2, s10, s2
	s_addc_u32 s3, s11, s3
	s_load_dwordx2 s[6:7], s[2:3], 0x0
	s_load_dwordx2 s[10:11], s[0:1], 0x20
	v_mov_b32_e32 v32, 0
                                        ; implicit-def: $vgpr18_vgpr19
                                        ; implicit-def: $vgpr22_vgpr23
                                        ; implicit-def: $vgpr10_vgpr11
                                        ; implicit-def: $vgpr14_vgpr15
                                        ; implicit-def: $vgpr6_vgpr7
	s_waitcnt lgkmcnt(0)
	v_mad_u64_u32 v[28:29], s[0:1], s6, v8, v[2:3]
	v_mul_lo_u32 v1, s6, v9
	v_mul_lo_u32 v4, s7, v8
	s_mov_b32 s0, 0x1948b10
	v_add3_u32 v29, v4, v29, v1
	v_mul_hi_u32 v1, v0, s0
	v_mul_u32_u24_e32 v1, 0xa2, v1
	v_cmp_gt_u64_e32 vcc, s[10:11], v[8:9]
	v_sub_u32_e32 v30, v0, v1
                                        ; implicit-def: $vgpr2_vgpr3
	s_and_saveexec_b64 s[2:3], vcc
	s_cbranch_execz .LBB0_13
; %bb.10:
	s_movk_i32 s0, 0x51
	v_cmp_gt_u32_e64 s[0:1], s0, v30
                                        ; implicit-def: $vgpr0_vgpr1
                                        ; implicit-def: $vgpr4_vgpr5
                                        ; implicit-def: $vgpr12_vgpr13
                                        ; implicit-def: $vgpr8_vgpr9
                                        ; implicit-def: $vgpr20_vgpr21
                                        ; implicit-def: $vgpr16_vgpr17
	s_and_saveexec_b64 s[6:7], s[0:1]
	s_cbranch_execz .LBB0_12
; %bb.11:
	v_mov_b32_e32 v31, 0
	v_lshl_add_u64 v[0:1], v[28:29], 4, s[8:9]
	v_lshl_add_u64 v[16:17], v[30:31], 4, v[0:1]
	s_movk_i32 s0, 0x1000
	global_load_dwordx4 v[0:3], v[16:17], off
	global_load_dwordx4 v[4:7], v[16:17], off offset:1296
	global_load_dwordx4 v[12:15], v[16:17], off offset:2592
	;; [unrolled: 1-line block ×3, first 2 shown]
	v_add_co_u32_e64 v24, s[0:1], s0, v16
	s_nop 1
	v_addc_co_u32_e64 v25, s[0:1], 0, v17, s[0:1]
	global_load_dwordx4 v[20:23], v[24:25], off offset:1088
	global_load_dwordx4 v[16:19], v[24:25], off offset:2384
.LBB0_12:
	s_or_b64 exec, exec, s[6:7]
	v_mov_b32_e32 v32, v30
.LBB0_13:
	s_or_b64 exec, exec, s[2:3]
	s_waitcnt vmcnt(0)
	v_add_f64 v[24:25], v[16:17], v[8:9]
	s_mov_b32 s6, 0xe8584caa
	v_fma_f64 v[34:35], -0.5, v[24:25], v[4:5]
	v_add_f64 v[24:25], v[10:11], -v[18:19]
	s_mov_b32 s7, 0xbfebb67a
	s_mov_b32 s11, 0x3febb67a
	;; [unrolled: 1-line block ×3, first 2 shown]
	v_fma_f64 v[36:37], s[6:7], v[24:25], v[34:35]
	v_fmac_f64_e32 v[34:35], s[10:11], v[24:25]
	v_add_f64 v[24:25], v[18:19], v[10:11]
	v_fma_f64 v[38:39], -0.5, v[24:25], v[6:7]
	v_add_f64 v[24:25], v[8:9], -v[16:17]
	s_movk_i32 s0, 0x51
	v_fma_f64 v[40:41], s[10:11], v[24:25], v[38:39]
	v_fmac_f64_e32 v[38:39], s[6:7], v[24:25]
	v_cmp_gt_u32_e64 s[0:1], s0, v30
	s_and_saveexec_b64 s[2:3], s[0:1]
	s_cbranch_execz .LBB0_15
; %bb.14:
	v_add_f64 v[24:25], v[20:21], v[12:13]
	v_fma_f64 v[46:47], -0.5, v[24:25], v[0:1]
	v_add_f64 v[24:25], v[14:15], -v[22:23]
	v_mul_f64 v[48:49], v[38:39], s[6:7]
	v_mul_f64 v[50:51], v[40:41], s[6:7]
	v_add_f64 v[0:1], v[12:13], v[0:1]
	v_add_f64 v[4:5], v[8:9], v[4:5]
	v_fma_f64 v[42:43], s[10:11], v[24:25], v[46:47]
	v_fmac_f64_e32 v[48:49], -0.5, v[34:35]
	v_fmac_f64_e32 v[46:47], s[6:7], v[24:25]
	v_fmac_f64_e32 v[50:51], 0.5, v[36:37]
	v_add_f64 v[0:1], v[20:21], v[0:1]
	v_add_f64 v[4:5], v[16:17], v[4:5]
	v_add_f64 v[26:27], v[42:43], -v[48:49]
	v_add_f64 v[24:25], v[46:47], -v[50:51]
	;; [unrolled: 1-line block ×3, first 2 shown]
	v_add_f64 v[42:43], v[42:43], v[48:49]
	v_add_f64 v[48:49], v[46:47], v[50:51]
	;; [unrolled: 1-line block ×3, first 2 shown]
	v_mul_u32_u24_e32 v0, 6, v30
	v_lshl_add_u32 v0, v0, 3, 0
	ds_write_b128 v0, v[46:49]
	ds_write_b128 v0, v[42:45] offset:16
	ds_write_b128 v0, v[24:27] offset:32
.LBB0_15:
	s_or_b64 exec, exec, s[2:3]
	v_lshl_add_u32 v8, v30, 3, 0
	s_waitcnt lgkmcnt(0)
	s_barrier
	ds_read2_b64 v[24:27], v8 offset1:162
	ds_read_b64 v[0:1], v8 offset:2592
	s_waitcnt lgkmcnt(0)
	s_barrier
	s_and_saveexec_b64 s[2:3], s[0:1]
	s_cbranch_execz .LBB0_17
; %bb.16:
	v_add_f64 v[4:5], v[14:15], v[2:3]
	v_add_f64 v[16:17], v[22:23], v[4:5]
	;; [unrolled: 1-line block ×3, first 2 shown]
	s_mov_b32 s0, 0xe8584caa
	v_fmac_f64_e32 v[2:3], -0.5, v[4:5]
	v_add_f64 v[4:5], v[12:13], -v[20:21]
	s_mov_b32 s1, 0x3febb67a
	s_mov_b32 s7, 0xbfebb67a
	;; [unrolled: 1-line block ×3, first 2 shown]
	v_fma_f64 v[14:15], s[0:1], v[4:5], v[2:3]
	v_fmac_f64_e32 v[2:3], s[6:7], v[4:5]
	v_add_f64 v[4:5], v[10:11], v[6:7]
	v_add_f64 v[12:13], v[18:19], v[4:5]
	v_mul_f64 v[18:19], v[36:37], s[0:1]
	v_mul_f64 v[20:21], v[38:39], -0.5
	v_fmac_f64_e32 v[18:19], 0.5, v[40:41]
	v_fmac_f64_e32 v[20:21], s[0:1], v[34:35]
	v_add_f64 v[4:5], v[12:13], v[16:17]
	v_add_f64 v[6:7], v[14:15], v[18:19]
	;; [unrolled: 1-line block ×3, first 2 shown]
	v_add_f64 v[12:13], v[16:17], -v[12:13]
	v_add_f64 v[16:17], v[2:3], -v[20:21]
	v_mad_u32_u24 v2, v30, 40, v8
	v_add_f64 v[14:15], v[14:15], -v[18:19]
	ds_write_b128 v2, v[4:7]
	ds_write_b128 v2, v[10:13] offset:16
	ds_write_b128 v2, v[14:17] offset:32
.LBB0_17:
	s_or_b64 exec, exec, s[2:3]
	s_movk_i32 s0, 0xab
	v_mul_lo_u16_sdwa v2, v30, s0 dst_sel:DWORD dst_unused:UNUSED_PAD src0_sel:BYTE_0 src1_sel:DWORD
	v_lshrrev_b16_e32 v9, 10, v2
	v_mul_lo_u16_e32 v2, 6, v9
	v_sub_u16_e32 v18, v30, v2
	v_mov_b32_e32 v22, 5
	v_lshlrev_b32_sdwa v6, v22, v18 dst_sel:DWORD dst_unused:UNUSED_PAD src0_sel:DWORD src1_sel:BYTE_0
	s_waitcnt lgkmcnt(0)
	s_barrier
	global_load_dwordx4 v[2:5], v6, s[4:5]
	global_load_dwordx4 v[10:13], v6, s[4:5] offset:16
	ds_read2_b64 v[14:17], v8 offset1:162
	ds_read_b64 v[6:7], v8 offset:2592
	v_mov_b32_e32 v19, 57
	v_mul_lo_u16_sdwa v19, v30, v19 dst_sel:DWORD dst_unused:UNUSED_PAD src0_sel:BYTE_0 src1_sel:DWORD
	v_mov_b32_e32 v31, 3
	v_lshrrev_b16_e32 v23, 10, v19
	v_mul_u32_u24_e32 v9, 0x90, v9
	v_mul_lo_u16_e32 v19, 18, v23
	v_lshlrev_b32_sdwa v18, v31, v18 dst_sel:DWORD dst_unused:UNUSED_PAD src0_sel:DWORD src1_sel:BYTE_0
	v_sub_u16_e32 v33, v30, v19
	v_add3_u32 v9, 0, v9, v18
	s_mov_b32 s0, 0xe8584caa
	s_mov_b32 s1, 0xbfebb67a
	s_mov_b32 s3, 0x3febb67a
	s_mov_b32 s2, s0
	v_lshlrev_b32_sdwa v34, v22, v33 dst_sel:DWORD dst_unused:UNUSED_PAD src0_sel:DWORD src1_sel:BYTE_0
	s_waitcnt lgkmcnt(0)
	s_barrier
	s_waitcnt vmcnt(1)
	v_mul_f64 v[18:19], v[16:17], v[4:5]
	v_mul_f64 v[4:5], v[26:27], v[4:5]
	s_waitcnt vmcnt(0)
	v_mul_f64 v[20:21], v[6:7], v[12:13]
	v_mul_f64 v[12:13], v[0:1], v[12:13]
	v_fmac_f64_e32 v[18:19], v[26:27], v[2:3]
	v_fma_f64 v[2:3], v[16:17], v[2:3], -v[4:5]
	v_fmac_f64_e32 v[20:21], v[0:1], v[10:11]
	v_fma_f64 v[0:1], v[6:7], v[10:11], -v[12:13]
	v_add_f64 v[6:7], v[18:19], v[20:21]
	v_add_f64 v[10:11], v[2:3], -v[0:1]
	v_add_f64 v[12:13], v[14:15], v[2:3]
	v_add_f64 v[2:3], v[2:3], v[0:1]
	;; [unrolled: 1-line block ×3, first 2 shown]
	v_add_f64 v[16:17], v[18:19], -v[20:21]
	v_fmac_f64_e32 v[24:25], -0.5, v[6:7]
	v_fmac_f64_e32 v[14:15], -0.5, v[2:3]
	v_add_f64 v[4:5], v[4:5], v[20:21]
	v_add_f64 v[6:7], v[12:13], v[0:1]
	v_fma_f64 v[0:1], s[0:1], v[10:11], v[24:25]
	v_fmac_f64_e32 v[24:25], s[2:3], v[10:11]
	v_fma_f64 v[10:11], s[2:3], v[16:17], v[14:15]
	v_fmac_f64_e32 v[14:15], s[0:1], v[16:17]
	ds_write2_b64 v9, v[4:5], v[0:1] offset1:6
	ds_write_b64 v9, v[24:25] offset:96
	s_waitcnt lgkmcnt(0)
	s_barrier
	ds_read2_b64 v[0:3], v8 offset1:162
	ds_read_b64 v[18:19], v8 offset:2592
	s_waitcnt lgkmcnt(0)
	s_barrier
	ds_write2_b64 v9, v[6:7], v[10:11] offset1:6
	ds_write_b64 v9, v[14:15] offset:96
	s_waitcnt lgkmcnt(0)
	s_barrier
	global_load_dwordx4 v[4:7], v34, s[4:5] offset:192
	global_load_dwordx4 v[10:13], v34, s[4:5] offset:208
	v_mov_b32_e32 v9, 19
	v_mul_lo_u16_sdwa v9, v30, v9 dst_sel:DWORD dst_unused:UNUSED_PAD src0_sel:BYTE_0 src1_sel:DWORD
	v_lshrrev_b16_e32 v9, 10, v9
	v_mul_lo_u16_e32 v15, 54, v9
	v_mul_u32_u24_e32 v14, 0x1b0, v23
	v_sub_u16_e32 v26, v30, v15
	v_lshlrev_b32_sdwa v15, v31, v33 dst_sel:DWORD dst_unused:UNUSED_PAD src0_sel:DWORD src1_sel:BYTE_0
	v_add3_u32 v33, 0, v14, v15
	ds_read2_b64 v[14:17], v8 offset1:162
	ds_read_b64 v[20:21], v8 offset:2592
	v_lshlrev_b32_sdwa v27, v22, v26 dst_sel:DWORD dst_unused:UNUSED_PAD src0_sel:DWORD src1_sel:BYTE_0
	s_waitcnt lgkmcnt(0)
	s_barrier
	v_mul_u32_u24_e32 v9, 0x510, v9
	s_waitcnt vmcnt(1)
	v_mul_f64 v[22:23], v[16:17], v[6:7]
	v_mul_f64 v[6:7], v[2:3], v[6:7]
	s_waitcnt vmcnt(0)
	v_mul_f64 v[24:25], v[20:21], v[12:13]
	v_mul_f64 v[12:13], v[18:19], v[12:13]
	v_fmac_f64_e32 v[22:23], v[2:3], v[4:5]
	v_fma_f64 v[2:3], v[16:17], v[4:5], -v[6:7]
	v_fmac_f64_e32 v[24:25], v[18:19], v[10:11]
	v_fma_f64 v[4:5], v[20:21], v[10:11], -v[12:13]
	v_add_f64 v[10:11], v[22:23], v[24:25]
	v_add_f64 v[12:13], v[2:3], -v[4:5]
	v_add_f64 v[16:17], v[14:15], v[2:3]
	v_add_f64 v[2:3], v[2:3], v[4:5]
	;; [unrolled: 1-line block ×3, first 2 shown]
	v_add_f64 v[18:19], v[22:23], -v[24:25]
	v_fmac_f64_e32 v[0:1], -0.5, v[10:11]
	v_fmac_f64_e32 v[14:15], -0.5, v[2:3]
	v_add_f64 v[6:7], v[6:7], v[24:25]
	v_add_f64 v[4:5], v[16:17], v[4:5]
	v_fma_f64 v[2:3], s[0:1], v[12:13], v[0:1]
	v_fmac_f64_e32 v[0:1], s[2:3], v[12:13]
	v_fma_f64 v[10:11], s[2:3], v[18:19], v[14:15]
	v_fmac_f64_e32 v[14:15], s[0:1], v[18:19]
	ds_write2_b64 v33, v[6:7], v[2:3] offset1:18
	ds_write_b64 v33, v[0:1] offset:288
	s_waitcnt lgkmcnt(0)
	s_barrier
	ds_read2_b64 v[0:3], v8 offset1:162
	ds_read_b64 v[18:19], v8 offset:2592
	s_waitcnt lgkmcnt(0)
	s_barrier
	ds_write2_b64 v33, v[4:5], v[10:11] offset1:18
	ds_write_b64 v33, v[14:15] offset:288
	s_waitcnt lgkmcnt(0)
	s_barrier
	global_load_dwordx4 v[4:7], v27, s[4:5] offset:768
	global_load_dwordx4 v[10:13], v27, s[4:5] offset:784
	v_lshlrev_b32_sdwa v14, v31, v26 dst_sel:DWORD dst_unused:UNUSED_PAD src0_sel:DWORD src1_sel:BYTE_0
	v_add3_u32 v9, 0, v9, v14
	ds_read2_b64 v[14:17], v8 offset1:162
	ds_read_b64 v[20:21], v8 offset:2592
	s_waitcnt lgkmcnt(0)
	s_barrier
	s_waitcnt vmcnt(1)
	v_mul_f64 v[22:23], v[16:17], v[6:7]
	s_waitcnt vmcnt(0)
	v_mul_f64 v[24:25], v[20:21], v[12:13]
	v_mul_f64 v[6:7], v[2:3], v[6:7]
	;; [unrolled: 1-line block ×3, first 2 shown]
	v_fmac_f64_e32 v[22:23], v[2:3], v[4:5]
	v_fmac_f64_e32 v[24:25], v[18:19], v[10:11]
	v_fma_f64 v[2:3], v[16:17], v[4:5], -v[6:7]
	v_fma_f64 v[4:5], v[20:21], v[10:11], -v[12:13]
	v_add_f64 v[10:11], v[22:23], v[24:25]
	v_add_f64 v[6:7], v[0:1], v[22:23]
	v_add_f64 v[12:13], v[2:3], -v[4:5]
	v_add_f64 v[16:17], v[14:15], v[2:3]
	v_add_f64 v[2:3], v[2:3], v[4:5]
	v_fmac_f64_e32 v[0:1], -0.5, v[10:11]
	v_add_f64 v[6:7], v[6:7], v[24:25]
	v_fmac_f64_e32 v[14:15], -0.5, v[2:3]
	v_fma_f64 v[2:3], s[0:1], v[12:13], v[0:1]
	v_fmac_f64_e32 v[0:1], s[2:3], v[12:13]
	v_add_f64 v[10:11], v[16:17], v[4:5]
	ds_write2_b64 v9, v[6:7], v[2:3] offset1:54
	ds_write_b64 v9, v[0:1] offset:864
	s_waitcnt lgkmcnt(0)
	s_barrier
	ds_read2_b64 v[0:3], v8 offset1:162
	ds_read_b64 v[4:5], v8 offset:2592
	v_add_f64 v[18:19], v[22:23], -v[24:25]
	v_fma_f64 v[12:13], s[2:3], v[18:19], v[14:15]
	v_fmac_f64_e32 v[14:15], s[0:1], v[18:19]
	s_waitcnt lgkmcnt(0)
	s_barrier
	ds_write2_b64 v9, v[10:11], v[12:13] offset1:54
	ds_write_b64 v9, v[14:15] offset:864
	s_waitcnt lgkmcnt(0)
	s_barrier
	s_and_saveexec_b64 s[6:7], vcc
	s_cbranch_execz .LBB0_19
; %bb.18:
	v_lshlrev_b32_e32 v6, 1, v30
	v_mov_b32_e32 v7, 0
	v_lshl_add_u64 v[18:19], v[6:7], 4, s[4:5]
	global_load_dwordx4 v[10:13], v[18:19], off offset:2496
	global_load_dwordx4 v[14:17], v[18:19], off offset:2512
	ds_read2_b64 v[18:21], v8 offset1:162
	ds_read_b64 v[8:9], v8 offset:2592
	v_mov_b32_e32 v33, v7
	v_lshl_add_u64 v[22:23], v[28:29], 4, s[8:9]
	v_lshl_add_u64 v[22:23], v[32:33], 4, v[22:23]
	v_add_co_u32_e32 v24, vcc, 0x1000, v22
	s_waitcnt vmcnt(1)
	v_mul_f64 v[6:7], v[2:3], v[12:13]
	s_waitcnt vmcnt(0)
	v_mul_f64 v[26:27], v[4:5], v[16:17]
	s_waitcnt lgkmcnt(1)
	v_mul_f64 v[12:13], v[20:21], v[12:13]
	s_waitcnt lgkmcnt(0)
	v_mul_f64 v[16:17], v[8:9], v[16:17]
	v_fma_f64 v[6:7], v[20:21], v[10:11], -v[6:7]
	v_fma_f64 v[8:9], v[8:9], v[14:15], -v[26:27]
	v_fmac_f64_e32 v[12:13], v[2:3], v[10:11]
	v_fmac_f64_e32 v[16:17], v[4:5], v[14:15]
	v_add_f64 v[2:3], v[6:7], v[8:9]
	v_add_f64 v[14:15], v[12:13], -v[16:17]
	v_add_f64 v[4:5], v[18:19], v[6:7]
	v_add_f64 v[10:11], v[12:13], v[16:17]
	;; [unrolled: 1-line block ×3, first 2 shown]
	v_add_f64 v[20:21], v[6:7], -v[8:9]
	v_fma_f64 v[2:3], -0.5, v[2:3], v[18:19]
	v_add_f64 v[6:7], v[4:5], v[8:9]
	v_fma_f64 v[0:1], -0.5, v[10:11], v[0:1]
	v_add_f64 v[4:5], v[12:13], v[16:17]
	v_addc_co_u32_e32 v25, vcc, 0, v23, vcc
	v_fma_f64 v[10:11], s[0:1], v[14:15], v[2:3]
	v_fmac_f64_e32 v[2:3], s[2:3], v[14:15]
	v_fma_f64 v[8:9], s[2:3], v[20:21], v[0:1]
	v_fmac_f64_e32 v[0:1], s[0:1], v[20:21]
	global_store_dwordx4 v[22:23], v[4:7], off
	global_store_dwordx4 v[22:23], v[0:3], off offset:2592
	global_store_dwordx4 v[24:25], v[8:11], off offset:1088
.LBB0_19:
	s_endpgm
	.section	.rodata,"a",@progbits
	.p2align	6, 0x0
	.amdhsa_kernel fft_rtc_back_len486_factors_6_3_3_3_3_wgs_162_tpt_162_halfLds_dp_ip_CI_unitstride_sbrr_dirReg
		.amdhsa_group_segment_fixed_size 0
		.amdhsa_private_segment_fixed_size 0
		.amdhsa_kernarg_size 88
		.amdhsa_user_sgpr_count 2
		.amdhsa_user_sgpr_dispatch_ptr 0
		.amdhsa_user_sgpr_queue_ptr 0
		.amdhsa_user_sgpr_kernarg_segment_ptr 1
		.amdhsa_user_sgpr_dispatch_id 0
		.amdhsa_user_sgpr_kernarg_preload_length 0
		.amdhsa_user_sgpr_kernarg_preload_offset 0
		.amdhsa_user_sgpr_private_segment_size 0
		.amdhsa_uses_dynamic_stack 0
		.amdhsa_enable_private_segment 0
		.amdhsa_system_sgpr_workgroup_id_x 1
		.amdhsa_system_sgpr_workgroup_id_y 0
		.amdhsa_system_sgpr_workgroup_id_z 0
		.amdhsa_system_sgpr_workgroup_info 0
		.amdhsa_system_vgpr_workitem_id 0
		.amdhsa_next_free_vgpr 52
		.amdhsa_next_free_sgpr 22
		.amdhsa_accum_offset 52
		.amdhsa_reserve_vcc 1
		.amdhsa_float_round_mode_32 0
		.amdhsa_float_round_mode_16_64 0
		.amdhsa_float_denorm_mode_32 3
		.amdhsa_float_denorm_mode_16_64 3
		.amdhsa_dx10_clamp 1
		.amdhsa_ieee_mode 1
		.amdhsa_fp16_overflow 0
		.amdhsa_tg_split 0
		.amdhsa_exception_fp_ieee_invalid_op 0
		.amdhsa_exception_fp_denorm_src 0
		.amdhsa_exception_fp_ieee_div_zero 0
		.amdhsa_exception_fp_ieee_overflow 0
		.amdhsa_exception_fp_ieee_underflow 0
		.amdhsa_exception_fp_ieee_inexact 0
		.amdhsa_exception_int_div_zero 0
	.end_amdhsa_kernel
	.text
.Lfunc_end0:
	.size	fft_rtc_back_len486_factors_6_3_3_3_3_wgs_162_tpt_162_halfLds_dp_ip_CI_unitstride_sbrr_dirReg, .Lfunc_end0-fft_rtc_back_len486_factors_6_3_3_3_3_wgs_162_tpt_162_halfLds_dp_ip_CI_unitstride_sbrr_dirReg
                                        ; -- End function
	.section	.AMDGPU.csdata,"",@progbits
; Kernel info:
; codeLenInByte = 3192
; NumSgprs: 28
; NumVgprs: 52
; NumAgprs: 0
; TotalNumVgprs: 52
; ScratchSize: 0
; MemoryBound: 1
; FloatMode: 240
; IeeeMode: 1
; LDSByteSize: 0 bytes/workgroup (compile time only)
; SGPRBlocks: 3
; VGPRBlocks: 6
; NumSGPRsForWavesPerEU: 28
; NumVGPRsForWavesPerEU: 52
; AccumOffset: 52
; Occupancy: 8
; WaveLimiterHint : 1
; COMPUTE_PGM_RSRC2:SCRATCH_EN: 0
; COMPUTE_PGM_RSRC2:USER_SGPR: 2
; COMPUTE_PGM_RSRC2:TRAP_HANDLER: 0
; COMPUTE_PGM_RSRC2:TGID_X_EN: 1
; COMPUTE_PGM_RSRC2:TGID_Y_EN: 0
; COMPUTE_PGM_RSRC2:TGID_Z_EN: 0
; COMPUTE_PGM_RSRC2:TIDIG_COMP_CNT: 0
; COMPUTE_PGM_RSRC3_GFX90A:ACCUM_OFFSET: 12
; COMPUTE_PGM_RSRC3_GFX90A:TG_SPLIT: 0
	.text
	.p2alignl 6, 3212836864
	.fill 256, 4, 3212836864
	.type	__hip_cuid_12797a9624a9612c,@object ; @__hip_cuid_12797a9624a9612c
	.section	.bss,"aw",@nobits
	.globl	__hip_cuid_12797a9624a9612c
__hip_cuid_12797a9624a9612c:
	.byte	0                               ; 0x0
	.size	__hip_cuid_12797a9624a9612c, 1

	.ident	"AMD clang version 19.0.0git (https://github.com/RadeonOpenCompute/llvm-project roc-6.4.0 25133 c7fe45cf4b819c5991fe208aaa96edf142730f1d)"
	.section	".note.GNU-stack","",@progbits
	.addrsig
	.addrsig_sym __hip_cuid_12797a9624a9612c
	.amdgpu_metadata
---
amdhsa.kernels:
  - .agpr_count:     0
    .args:
      - .actual_access:  read_only
        .address_space:  global
        .offset:         0
        .size:           8
        .value_kind:     global_buffer
      - .offset:         8
        .size:           8
        .value_kind:     by_value
      - .actual_access:  read_only
        .address_space:  global
        .offset:         16
        .size:           8
        .value_kind:     global_buffer
      - .actual_access:  read_only
        .address_space:  global
        .offset:         24
        .size:           8
        .value_kind:     global_buffer
      - .offset:         32
        .size:           8
        .value_kind:     by_value
      - .actual_access:  read_only
        .address_space:  global
        .offset:         40
        .size:           8
        .value_kind:     global_buffer
      - .actual_access:  read_only
        .address_space:  global
        .offset:         48
        .size:           8
        .value_kind:     global_buffer
      - .offset:         56
        .size:           4
        .value_kind:     by_value
      - .actual_access:  read_only
        .address_space:  global
        .offset:         64
        .size:           8
        .value_kind:     global_buffer
      - .actual_access:  read_only
        .address_space:  global
        .offset:         72
        .size:           8
        .value_kind:     global_buffer
      - .address_space:  global
        .offset:         80
        .size:           8
        .value_kind:     global_buffer
    .group_segment_fixed_size: 0
    .kernarg_segment_align: 8
    .kernarg_segment_size: 88
    .language:       OpenCL C
    .language_version:
      - 2
      - 0
    .max_flat_workgroup_size: 162
    .name:           fft_rtc_back_len486_factors_6_3_3_3_3_wgs_162_tpt_162_halfLds_dp_ip_CI_unitstride_sbrr_dirReg
    .private_segment_fixed_size: 0
    .sgpr_count:     28
    .sgpr_spill_count: 0
    .symbol:         fft_rtc_back_len486_factors_6_3_3_3_3_wgs_162_tpt_162_halfLds_dp_ip_CI_unitstride_sbrr_dirReg.kd
    .uniform_work_group_size: 1
    .uses_dynamic_stack: false
    .vgpr_count:     52
    .vgpr_spill_count: 0
    .wavefront_size: 64
amdhsa.target:   amdgcn-amd-amdhsa--gfx950
amdhsa.version:
  - 1
  - 2
...

	.end_amdgpu_metadata
